;; amdgpu-corpus repo=zjin-lcf/HeCBench kind=compiled arch=gfx1250 opt=O3
	.amdgcn_target "amdgcn-amd-amdhsa--gfx1250"
	.amdhsa_code_object_version 6
	.text
	.protected	_Z19kernel_1024_one_256PKfS0_S0_S0_Pf ; -- Begin function _Z19kernel_1024_one_256PKfS0_S0_S0_Pf
	.globl	_Z19kernel_1024_one_256PKfS0_S0_S0_Pf
	.p2align	8
	.type	_Z19kernel_1024_one_256PKfS0_S0_S0_Pf,@function
_Z19kernel_1024_one_256PKfS0_S0_S0_Pf:  ; @_Z19kernel_1024_one_256PKfS0_S0_S0_Pf
; %bb.0:
	s_load_b256 s[4:11], s[0:1], 0x0
	s_bfe_u32 s2, ttmp6, 0x4000c
	v_and_b32_e32 v3, 0x3ff, v0
	v_bfe_u32 v5, v0, 10, 10
	s_add_co_i32 s2, s2, 1
	s_and_b32 s3, ttmp6, 15
	s_mul_i32 s2, ttmp9, s2
	s_getreg_b32 s12, hwreg(HW_REG_IB_STS2, 6, 4)
	s_add_co_i32 s3, s3, s2
	v_lshl_add_u32 v2, v5, 8, v3
	s_cmp_eq_u32 s12, 0
	v_dual_mov_b32 v7, 0 :: v_dual_lshlrev_b32 v6, 2, v3
	s_cselect_b32 s2, ttmp9, s3
	s_wait_xcnt 0x0
	s_load_b64 s[0:1], s[0:1], 0x20
	v_lshl_add_u32 v0, s2, 12, v2
	v_dual_mov_b32 v1, v7 :: v_dual_add_nc_u32 v4, 0, v6
	s_mov_b32 s3, -16
	s_wait_kmcnt 0x0
	s_clause 0x3
	global_load_b32 v8, v0, s[4:5] scale_offset
	global_load_b32 v9, v0, s[4:5] offset:4096 scale_offset
	global_load_b32 v10, v0, s[4:5] offset:8192 scale_offset
	;; [unrolled: 1-line block ×3, first 2 shown]
	s_clause 0x1
	global_load_b32 v12, v3, s[8:9] scale_offset
	global_load_b32 v13, v3, s[10:11] scale_offset
	s_wait_xcnt 0x2
	v_lshlrev_b32_e32 v0, 10, v5
	s_wait_xcnt 0x0
	v_lshl_add_u32 v3, v2, 2, 0
	v_lshl_add_u32 v5, v5, 12, 0
	s_wait_loadcnt 0x4
	ds_store_2addr_stride64_b32 v3, v8, v9 offset1:16
	s_wait_loadcnt 0x2
	ds_store_2addr_stride64_b32 v3, v10, v11 offset0:32 offset1:48
	s_wait_loadcnt 0x0
	ds_store_2addr_stride64_b32 v4, v12, v13 offset0:144 offset1:148
	ds_store_b32 v3, v7 offset:32768
	v_add_nc_u64_e32 v[0:1], v[0:1], v[6:7]
	s_wait_dscnt 0x0
	s_barrier_signal -1
	s_barrier_wait -1
	s_delay_alu instid0(VALU_DEP_1) | instskip(NEXT) | instid1(VALU_DEP_1)
	v_add_nc_u64_e32 v[0:1], s[6:7], v[0:1]
	v_add_nc_u64_e32 v[0:1], 0x2000, v[0:1]
.LBB0_1:                                ; =>This Inner Loop Header: Depth=1
	s_clause 0x3
	global_load_b32 v6, v[0:1], off offset:-8192
	global_load_b32 v7, v[0:1], off offset:-4096
	global_load_b32 v8, v[0:1], off
	global_load_b32 v9, v[0:1], off offset:4096
	s_wait_xcnt 0x0
	v_add_nc_u64_e32 v[0:1], 0x4000, v[0:1]
	s_add_co_i32 s3, s3, 16
	s_wait_loadcnt 0x2
	ds_store_2addr_stride64_b32 v3, v6, v7 offset0:64 offset1:80
	s_wait_loadcnt 0x0
	ds_store_2addr_stride64_b32 v3, v8, v9 offset0:96 offset1:112
	s_wait_dscnt 0x0
	s_barrier_signal -1
	s_barrier_wait -1
	ds_load_b32 v8, v5
	ds_load_2addr_stride64_b32 v[6:7], v4 offset0:64 offset1:68
	ds_load_b32 v10, v3 offset:32768
	ds_load_b32 v11, v4 offset:28672
	s_cmp_gt_u32 s3, 0x3ef
	s_wait_dscnt 0x1
	v_fmac_f32_e32 v10, v8, v6
	ds_store_b32 v3, v10 offset:32768
	ds_load_b32 v6, v5 offset:4
	ds_load_2addr_stride64_b32 v[8:9], v4 offset0:72 offset1:76
	s_wait_dscnt 0x1
	v_fmac_f32_e32 v10, v6, v7
	ds_store_b32 v3, v10 offset:32768
	ds_load_b32 v6, v5 offset:8
	s_wait_dscnt 0x0
	v_fmac_f32_e32 v10, v6, v8
	ds_store_b32 v3, v10 offset:32768
	ds_load_b32 v8, v5 offset:12
	ds_load_2addr_stride64_b32 v[6:7], v4 offset0:80 offset1:84
	s_wait_dscnt 0x1
	v_fmac_f32_e32 v10, v8, v9
	ds_store_b32 v3, v10 offset:32768
	ds_load_b32 v8, v5 offset:16
	;; [unrolled: 9-line block ×5, first 2 shown]
	s_wait_dscnt 0x0
	v_fmac_f32_e32 v10, v6, v8
	ds_store_b32 v3, v10 offset:32768
	ds_load_b32 v6, v5 offset:44
	s_wait_dscnt 0x0
	v_fmac_f32_e32 v10, v6, v9
	ds_store_b32 v3, v10 offset:32768
	ds_load_b32 v6, v5 offset:48
	;; [unrolled: 4-line block ×3, first 2 shown]
	ds_load_b32 v7, v4 offset:29696
	s_wait_dscnt 0x0
	v_fmac_f32_e32 v10, v6, v7
	ds_store_b32 v3, v10 offset:32768
	ds_load_b32 v6, v5 offset:56
	ds_load_b32 v7, v4 offset:30720
	s_wait_dscnt 0x0
	v_fmac_f32_e32 v10, v6, v7
	ds_store_b32 v3, v10 offset:32768
	ds_load_b32 v6, v5 offset:60
	ds_load_b32 v7, v4 offset:31744
	s_wait_dscnt 0x0
	v_dual_fmac_f32 v10, v6, v7 :: v_dual_add_nc_u32 v5, 64, v5
	ds_store_b32 v3, v10 offset:32768
	s_wait_dscnt 0x0
	s_barrier_signal -1
	s_barrier_wait -1
	s_cbranch_scc0 .LBB0_1
; %bb.2:
	ds_load_2addr_stride64_b32 v[0:1], v4 offset0:144 offset1:148
	ds_load_b32 v3, v3 offset:32768
	s_lshl_b32 s2, s2, 10
	s_delay_alu instid0(SALU_CYCLE_1) | instskip(NEXT) | instid1(SALU_CYCLE_1)
	s_ashr_i32 s3, s2, 31
	s_lshl_b64 s[2:3], s[2:3], 2
	s_delay_alu instid0(SALU_CYCLE_1) | instskip(SKIP_2) | instid1(VALU_DEP_1)
	s_add_nc_u64 s[0:1], s[0:1], s[2:3]
	s_wait_dscnt 0x0
	v_fmac_f32_e32 v0, v1, v3
	v_max_num_f32_e32 v0, 0, v0
	global_store_b32 v2, v0, s[0:1] scale_offset
	s_endpgm
	.section	.rodata,"a",@progbits
	.p2align	6, 0x0
	.amdhsa_kernel _Z19kernel_1024_one_256PKfS0_S0_S0_Pf
		.amdhsa_group_segment_fixed_size 0
		.amdhsa_private_segment_fixed_size 0
		.amdhsa_kernarg_size 40
		.amdhsa_user_sgpr_count 2
		.amdhsa_user_sgpr_dispatch_ptr 0
		.amdhsa_user_sgpr_queue_ptr 0
		.amdhsa_user_sgpr_kernarg_segment_ptr 1
		.amdhsa_user_sgpr_dispatch_id 0
		.amdhsa_user_sgpr_kernarg_preload_length 0
		.amdhsa_user_sgpr_kernarg_preload_offset 0
		.amdhsa_user_sgpr_private_segment_size 0
		.amdhsa_wavefront_size32 1
		.amdhsa_uses_dynamic_stack 0
		.amdhsa_enable_private_segment 0
		.amdhsa_system_sgpr_workgroup_id_x 1
		.amdhsa_system_sgpr_workgroup_id_y 0
		.amdhsa_system_sgpr_workgroup_id_z 0
		.amdhsa_system_sgpr_workgroup_info 0
		.amdhsa_system_vgpr_workitem_id 1
		.amdhsa_next_free_vgpr 14
		.amdhsa_next_free_sgpr 13
		.amdhsa_named_barrier_count 0
		.amdhsa_reserve_vcc 0
		.amdhsa_float_round_mode_32 0
		.amdhsa_float_round_mode_16_64 0
		.amdhsa_float_denorm_mode_32 3
		.amdhsa_float_denorm_mode_16_64 3
		.amdhsa_fp16_overflow 0
		.amdhsa_memory_ordered 1
		.amdhsa_forward_progress 1
		.amdhsa_inst_pref_size 8
		.amdhsa_round_robin_scheduling 0
		.amdhsa_exception_fp_ieee_invalid_op 0
		.amdhsa_exception_fp_denorm_src 0
		.amdhsa_exception_fp_ieee_div_zero 0
		.amdhsa_exception_fp_ieee_overflow 0
		.amdhsa_exception_fp_ieee_underflow 0
		.amdhsa_exception_fp_ieee_inexact 0
		.amdhsa_exception_int_div_zero 0
	.end_amdhsa_kernel
	.text
.Lfunc_end0:
	.size	_Z19kernel_1024_one_256PKfS0_S0_S0_Pf, .Lfunc_end0-_Z19kernel_1024_one_256PKfS0_S0_S0_Pf
                                        ; -- End function
	.set _Z19kernel_1024_one_256PKfS0_S0_S0_Pf.num_vgpr, 14
	.set _Z19kernel_1024_one_256PKfS0_S0_S0_Pf.num_agpr, 0
	.set _Z19kernel_1024_one_256PKfS0_S0_S0_Pf.numbered_sgpr, 13
	.set _Z19kernel_1024_one_256PKfS0_S0_S0_Pf.num_named_barrier, 0
	.set _Z19kernel_1024_one_256PKfS0_S0_S0_Pf.private_seg_size, 0
	.set _Z19kernel_1024_one_256PKfS0_S0_S0_Pf.uses_vcc, 0
	.set _Z19kernel_1024_one_256PKfS0_S0_S0_Pf.uses_flat_scratch, 0
	.set _Z19kernel_1024_one_256PKfS0_S0_S0_Pf.has_dyn_sized_stack, 0
	.set _Z19kernel_1024_one_256PKfS0_S0_S0_Pf.has_recursion, 0
	.set _Z19kernel_1024_one_256PKfS0_S0_S0_Pf.has_indirect_call, 0
	.section	.AMDGPU.csdata,"",@progbits
; Kernel info:
; codeLenInByte = 968
; TotalNumSgprs: 13
; NumVgprs: 14
; ScratchSize: 0
; MemoryBound: 0
; FloatMode: 240
; IeeeMode: 1
; LDSByteSize: 0 bytes/workgroup (compile time only)
; SGPRBlocks: 0
; VGPRBlocks: 0
; NumSGPRsForWavesPerEU: 13
; NumVGPRsForWavesPerEU: 14
; NamedBarCnt: 0
; Occupancy: 16
; WaveLimiterHint : 1
; COMPUTE_PGM_RSRC2:SCRATCH_EN: 0
; COMPUTE_PGM_RSRC2:USER_SGPR: 2
; COMPUTE_PGM_RSRC2:TRAP_HANDLER: 0
; COMPUTE_PGM_RSRC2:TGID_X_EN: 1
; COMPUTE_PGM_RSRC2:TGID_Y_EN: 0
; COMPUTE_PGM_RSRC2:TGID_Z_EN: 0
; COMPUTE_PGM_RSRC2:TIDIG_COMP_CNT: 1
	.text
	.protected	_Z19kernel_256_one_1024PKfS0_S0_S0_Pf ; -- Begin function _Z19kernel_256_one_1024PKfS0_S0_S0_Pf
	.globl	_Z19kernel_256_one_1024PKfS0_S0_S0_Pf
	.p2align	8
	.type	_Z19kernel_256_one_1024PKfS0_S0_S0_Pf,@function
_Z19kernel_256_one_1024PKfS0_S0_S0_Pf:  ; @_Z19kernel_256_one_1024PKfS0_S0_S0_Pf
; %bb.0:
	s_load_b256 s[4:11], s[0:1], 0x0
	s_bfe_u32 s2, ttmp6, 0x4000c
	s_bfe_u32 s12, ttmp6, 0x40010
	s_add_co_i32 s2, s2, 1
	s_and_b32 s3, ttmp6, 15
	s_mul_i32 s2, ttmp9, s2
	s_add_co_i32 s12, s12, 1
	v_and_b32_e32 v2, 0x3ff, v0
	v_bfe_u32 v0, v0, 10, 10
	s_add_co_i32 s3, s3, s2
	s_mul_i32 s2, ttmp7, s12
	s_bfe_u32 s12, ttmp6, 0x40004
	s_getreg_b32 s13, hwreg(HW_REG_IB_STS2, 6, 4)
	s_add_co_i32 s12, s12, s2
	s_cmp_eq_u32 s13, 0
	v_lshl_add_u32 v1, v0, 8, v2
	s_cselect_b32 s2, ttmp7, s12
	s_cselect_b32 s3, ttmp9, s3
	s_lshl_b32 s2, s2, 8
	s_wait_xcnt 0x0
	s_load_b64 s[0:1], s[0:1], 0x20
	v_lshl_add_u32 v3, s3, 10, v1
	v_add_nc_u32_e32 v6, s2, v2
	s_wait_kmcnt 0x0
	global_load_b32 v7, v3, s[4:5] scale_offset
	s_clause 0x1
	global_load_b32 v8, v6, s[8:9] scale_offset
	global_load_b32 v9, v6, s[10:11] scale_offset
	s_wait_xcnt 0x2
	v_lshl_add_u32 v3, v1, 2, 0
	v_lshl_add_u32 v4, v2, 2, 0
	v_dual_lshlrev_b32 v5, 10, v0 :: v_dual_mov_b32 v1, 0
	s_mov_b32 s4, 0
	s_movk_i32 s5, 0xffe0
	s_wait_loadcnt 0x2
	ds_store_b32 v3, v7
	s_wait_loadcnt 0x0
	ds_store_2addr_stride64_b32 v4, v8, v9 offset0:160 offset1:164
	ds_store_b32 v3, v1 offset:36864
	s_wait_dscnt 0x0
	s_barrier_signal -1
	s_barrier_wait -1
.LBB1_1:                                ; =>This Inner Loop Header: Depth=1
	v_add_nc_u32_e32 v0, v5, v6
	v_add_nc_u32_e32 v6, 0x8000, v6
	s_add_co_i32 s5, s5, 32
	s_delay_alu instid0(VALU_DEP_2)
	v_add_nc_u32_e32 v1, 0x1000, v0
	v_add_nc_u32_e32 v7, 0x2000, v0
	;; [unrolled: 1-line block ×7, first 2 shown]
	s_clause 0x7
	global_load_b32 v13, v0, s[6:7] scale_offset
	global_load_b32 v14, v1, s[6:7] scale_offset
	;; [unrolled: 1-line block ×8, first 2 shown]
	s_wait_xcnt 0x5
	v_add_nc_u32_e32 v7, s4, v5
	s_addk_co_i32 s4, 0x80
	s_cmp_lt_u32 s5, 0xe0
	s_wait_loadcnt 0x6
	ds_store_2addr_stride64_b32 v3, v13, v14 offset0:16 offset1:32
	s_wait_loadcnt 0x4
	ds_store_2addr_stride64_b32 v3, v15, v16 offset0:48 offset1:64
	;; [unrolled: 2-line block ×4, first 2 shown]
	s_wait_dscnt 0x0
	s_barrier_signal -1
	s_barrier_wait -1
	ds_load_b32 v8, v7
	ds_load_2addr_stride64_b32 v[0:1], v4 offset0:16 offset1:20
	ds_load_b32 v10, v3 offset:36864
	ds_load_b32 v11, v4 offset:32768
	s_wait_dscnt 0x1
	v_fmac_f32_e32 v10, v8, v0
	ds_store_b32 v3, v10 offset:36864
	ds_load_b32 v0, v7 offset:4
	ds_load_2addr_stride64_b32 v[8:9], v4 offset0:24 offset1:28
	s_wait_dscnt 0x1
	v_fmac_f32_e32 v10, v0, v1
	ds_store_b32 v3, v10 offset:36864
	ds_load_b32 v0, v7 offset:8
	s_wait_dscnt 0x0
	v_fmac_f32_e32 v10, v0, v8
	ds_store_b32 v3, v10 offset:36864
	ds_load_b32 v8, v7 offset:12
	ds_load_2addr_stride64_b32 v[0:1], v4 offset0:32 offset1:36
	s_wait_dscnt 0x1
	v_fmac_f32_e32 v10, v8, v9
	ds_store_b32 v3, v10 offset:36864
	ds_load_b32 v8, v7 offset:16
	s_wait_dscnt 0x0
	v_fmac_f32_e32 v10, v8, v0
	ds_store_b32 v3, v10 offset:36864
	ds_load_b32 v0, v7 offset:20
	ds_load_2addr_stride64_b32 v[8:9], v4 offset0:40 offset1:44
	s_wait_dscnt 0x1
	v_fmac_f32_e32 v10, v0, v1
	ds_store_b32 v3, v10 offset:36864
	ds_load_b32 v0, v7 offset:24
	s_wait_dscnt 0x0
	v_fmac_f32_e32 v10, v0, v8
	ds_store_b32 v3, v10 offset:36864
	ds_load_b32 v8, v7 offset:28
	ds_load_2addr_stride64_b32 v[0:1], v4 offset0:48 offset1:52
	s_wait_dscnt 0x1
	v_fmac_f32_e32 v10, v8, v9
	ds_store_b32 v3, v10 offset:36864
	ds_load_b32 v8, v7 offset:32
	s_wait_dscnt 0x0
	v_fmac_f32_e32 v10, v8, v0
	ds_store_b32 v3, v10 offset:36864
	ds_load_b32 v0, v7 offset:36
	ds_load_2addr_stride64_b32 v[8:9], v4 offset0:56 offset1:60
	s_wait_dscnt 0x1
	v_fmac_f32_e32 v10, v0, v1
	ds_store_b32 v3, v10 offset:36864
	ds_load_b32 v0, v7 offset:40
	s_wait_dscnt 0x0
	v_fmac_f32_e32 v10, v0, v8
	ds_store_b32 v3, v10 offset:36864
	ds_load_b32 v8, v7 offset:44
	ds_load_2addr_stride64_b32 v[0:1], v4 offset0:64 offset1:68
	s_wait_dscnt 0x1
	v_fmac_f32_e32 v10, v8, v9
	ds_store_b32 v3, v10 offset:36864
	ds_load_b32 v8, v7 offset:48
	s_wait_dscnt 0x0
	v_fmac_f32_e32 v10, v8, v0
	ds_store_b32 v3, v10 offset:36864
	ds_load_b32 v0, v7 offset:52
	ds_load_2addr_stride64_b32 v[8:9], v4 offset0:72 offset1:76
	s_wait_dscnt 0x1
	v_fmac_f32_e32 v10, v0, v1
	ds_store_b32 v3, v10 offset:36864
	ds_load_b32 v0, v7 offset:56
	s_wait_dscnt 0x0
	v_fmac_f32_e32 v10, v0, v8
	ds_store_b32 v3, v10 offset:36864
	ds_load_b32 v8, v7 offset:60
	ds_load_2addr_stride64_b32 v[0:1], v4 offset0:80 offset1:84
	s_wait_dscnt 0x1
	v_fmac_f32_e32 v10, v8, v9
	ds_store_b32 v3, v10 offset:36864
	ds_load_b32 v8, v7 offset:64
	s_wait_dscnt 0x0
	v_fmac_f32_e32 v10, v8, v0
	ds_store_b32 v3, v10 offset:36864
	ds_load_b32 v0, v7 offset:68
	ds_load_2addr_stride64_b32 v[8:9], v4 offset0:88 offset1:92
	s_wait_dscnt 0x1
	v_fmac_f32_e32 v10, v0, v1
	ds_store_b32 v3, v10 offset:36864
	ds_load_b32 v0, v7 offset:72
	s_wait_dscnt 0x0
	v_fmac_f32_e32 v10, v0, v8
	ds_store_b32 v3, v10 offset:36864
	ds_load_b32 v8, v7 offset:76
	ds_load_2addr_stride64_b32 v[0:1], v4 offset0:96 offset1:100
	s_wait_dscnt 0x1
	v_fmac_f32_e32 v10, v8, v9
	ds_store_b32 v3, v10 offset:36864
	ds_load_b32 v8, v7 offset:80
	s_wait_dscnt 0x0
	v_fmac_f32_e32 v10, v8, v0
	ds_store_b32 v3, v10 offset:36864
	ds_load_b32 v0, v7 offset:84
	ds_load_2addr_stride64_b32 v[8:9], v4 offset0:104 offset1:108
	s_wait_dscnt 0x1
	v_fmac_f32_e32 v10, v0, v1
	ds_store_b32 v3, v10 offset:36864
	ds_load_b32 v0, v7 offset:88
	s_wait_dscnt 0x0
	v_fmac_f32_e32 v10, v0, v8
	ds_store_b32 v3, v10 offset:36864
	ds_load_b32 v8, v7 offset:92
	ds_load_2addr_stride64_b32 v[0:1], v4 offset0:112 offset1:116
	s_wait_dscnt 0x1
	v_fmac_f32_e32 v10, v8, v9
	ds_store_b32 v3, v10 offset:36864
	ds_load_b32 v8, v7 offset:96
	s_wait_dscnt 0x0
	v_fmac_f32_e32 v10, v8, v0
	ds_store_b32 v3, v10 offset:36864
	ds_load_b32 v0, v7 offset:100
	ds_load_2addr_stride64_b32 v[8:9], v4 offset0:120 offset1:124
	s_wait_dscnt 0x1
	v_fmac_f32_e32 v10, v0, v1
	ds_store_b32 v3, v10 offset:36864
	ds_load_b32 v0, v7 offset:104
	s_wait_dscnt 0x0
	v_fmac_f32_e32 v10, v0, v8
	ds_store_b32 v3, v10 offset:36864
	ds_load_b32 v0, v7 offset:108
	s_wait_dscnt 0x0
	v_fmac_f32_e32 v10, v0, v9
	ds_store_b32 v3, v10 offset:36864
	;; [unrolled: 4-line block ×3, first 2 shown]
	ds_load_b32 v0, v7 offset:116
	ds_load_b32 v1, v4 offset:33792
	s_wait_dscnt 0x0
	v_fmac_f32_e32 v10, v0, v1
	ds_store_b32 v3, v10 offset:36864
	ds_load_b32 v0, v7 offset:120
	ds_load_b32 v1, v4 offset:34816
	s_wait_dscnt 0x0
	v_fmac_f32_e32 v10, v0, v1
	ds_store_b32 v3, v10 offset:36864
	;; [unrolled: 5-line block ×3, first 2 shown]
	s_wait_dscnt 0x0
	s_barrier_signal -1
	s_barrier_wait -1
	s_cbranch_scc1 .LBB1_1
; %bb.2:
	ds_load_2addr_stride64_b32 v[0:1], v4 offset0:160 offset1:164
	ds_load_b32 v3, v3 offset:36864
	s_lshl_b32 s4, s3, 12
	s_ashr_i32 s3, s2, 31
	s_ashr_i32 s5, s4, 31
	s_lshl_b64 s[2:3], s[2:3], 2
	s_lshl_b64 s[4:5], s[4:5], 2
	s_delay_alu instid0(SALU_CYCLE_1) | instskip(NEXT) | instid1(SALU_CYCLE_1)
	s_add_nc_u64 s[0:1], s[0:1], s[4:5]
	s_add_nc_u64 s[0:1], s[0:1], s[2:3]
	s_wait_dscnt 0x0
	v_fmac_f32_e32 v0, v1, v3
	v_or_b32_e32 v1, v5, v2
	global_store_b32 v1, v0, s[0:1] scale_offset
	s_endpgm
	.section	.rodata,"a",@progbits
	.p2align	6, 0x0
	.amdhsa_kernel _Z19kernel_256_one_1024PKfS0_S0_S0_Pf
		.amdhsa_group_segment_fixed_size 0
		.amdhsa_private_segment_fixed_size 0
		.amdhsa_kernarg_size 40
		.amdhsa_user_sgpr_count 2
		.amdhsa_user_sgpr_dispatch_ptr 0
		.amdhsa_user_sgpr_queue_ptr 0
		.amdhsa_user_sgpr_kernarg_segment_ptr 1
		.amdhsa_user_sgpr_dispatch_id 0
		.amdhsa_user_sgpr_kernarg_preload_length 0
		.amdhsa_user_sgpr_kernarg_preload_offset 0
		.amdhsa_user_sgpr_private_segment_size 0
		.amdhsa_wavefront_size32 1
		.amdhsa_uses_dynamic_stack 0
		.amdhsa_enable_private_segment 0
		.amdhsa_system_sgpr_workgroup_id_x 1
		.amdhsa_system_sgpr_workgroup_id_y 1
		.amdhsa_system_sgpr_workgroup_id_z 0
		.amdhsa_system_sgpr_workgroup_info 0
		.amdhsa_system_vgpr_workitem_id 1
		.amdhsa_next_free_vgpr 21
		.amdhsa_next_free_sgpr 14
		.amdhsa_named_barrier_count 0
		.amdhsa_reserve_vcc 0
		.amdhsa_float_round_mode_32 0
		.amdhsa_float_round_mode_16_64 0
		.amdhsa_float_denorm_mode_32 3
		.amdhsa_float_denorm_mode_16_64 3
		.amdhsa_fp16_overflow 0
		.amdhsa_memory_ordered 1
		.amdhsa_forward_progress 1
		.amdhsa_inst_pref_size 12
		.amdhsa_round_robin_scheduling 0
		.amdhsa_exception_fp_ieee_invalid_op 0
		.amdhsa_exception_fp_denorm_src 0
		.amdhsa_exception_fp_ieee_div_zero 0
		.amdhsa_exception_fp_ieee_overflow 0
		.amdhsa_exception_fp_ieee_underflow 0
		.amdhsa_exception_fp_ieee_inexact 0
		.amdhsa_exception_int_div_zero 0
	.end_amdhsa_kernel
	.text
.Lfunc_end1:
	.size	_Z19kernel_256_one_1024PKfS0_S0_S0_Pf, .Lfunc_end1-_Z19kernel_256_one_1024PKfS0_S0_S0_Pf
                                        ; -- End function
	.set _Z19kernel_256_one_1024PKfS0_S0_S0_Pf.num_vgpr, 21
	.set _Z19kernel_256_one_1024PKfS0_S0_S0_Pf.num_agpr, 0
	.set _Z19kernel_256_one_1024PKfS0_S0_S0_Pf.numbered_sgpr, 14
	.set _Z19kernel_256_one_1024PKfS0_S0_S0_Pf.num_named_barrier, 0
	.set _Z19kernel_256_one_1024PKfS0_S0_S0_Pf.private_seg_size, 0
	.set _Z19kernel_256_one_1024PKfS0_S0_S0_Pf.uses_vcc, 0
	.set _Z19kernel_256_one_1024PKfS0_S0_S0_Pf.uses_flat_scratch, 0
	.set _Z19kernel_256_one_1024PKfS0_S0_S0_Pf.has_dyn_sized_stack, 0
	.set _Z19kernel_256_one_1024PKfS0_S0_S0_Pf.has_recursion, 0
	.set _Z19kernel_256_one_1024PKfS0_S0_S0_Pf.has_indirect_call, 0
	.section	.AMDGPU.csdata,"",@progbits
; Kernel info:
; codeLenInByte = 1524
; TotalNumSgprs: 14
; NumVgprs: 21
; ScratchSize: 0
; MemoryBound: 0
; FloatMode: 240
; IeeeMode: 1
; LDSByteSize: 0 bytes/workgroup (compile time only)
; SGPRBlocks: 0
; VGPRBlocks: 1
; NumSGPRsForWavesPerEU: 14
; NumVGPRsForWavesPerEU: 21
; NamedBarCnt: 0
; Occupancy: 16
; WaveLimiterHint : 0
; COMPUTE_PGM_RSRC2:SCRATCH_EN: 0
; COMPUTE_PGM_RSRC2:USER_SGPR: 2
; COMPUTE_PGM_RSRC2:TRAP_HANDLER: 0
; COMPUTE_PGM_RSRC2:TGID_X_EN: 1
; COMPUTE_PGM_RSRC2:TGID_Y_EN: 1
; COMPUTE_PGM_RSRC2:TGID_Z_EN: 0
; COMPUTE_PGM_RSRC2:TIDIG_COMP_CNT: 1
	.text
	.p2alignl 7, 3214868480
	.fill 96, 4, 3214868480
	.section	.AMDGPU.gpr_maximums,"",@progbits
	.set amdgpu.max_num_vgpr, 0
	.set amdgpu.max_num_agpr, 0
	.set amdgpu.max_num_sgpr, 0
	.text
	.type	__hip_cuid_56624b8c7bdc58a9,@object ; @__hip_cuid_56624b8c7bdc58a9
	.section	.bss,"aw",@nobits
	.globl	__hip_cuid_56624b8c7bdc58a9
__hip_cuid_56624b8c7bdc58a9:
	.byte	0                               ; 0x0
	.size	__hip_cuid_56624b8c7bdc58a9, 1

	.ident	"AMD clang version 22.0.0git (https://github.com/RadeonOpenCompute/llvm-project roc-7.2.4 26084 f58b06dce1f9c15707c5f808fd002e18c2accf7e)"
	.section	".note.GNU-stack","",@progbits
	.addrsig
	.addrsig_sym __hip_cuid_56624b8c7bdc58a9
	.amdgpu_metadata
---
amdhsa.kernels:
  - .args:
      - .actual_access:  read_only
        .address_space:  global
        .offset:         0
        .size:           8
        .value_kind:     global_buffer
      - .actual_access:  read_only
        .address_space:  global
        .offset:         8
        .size:           8
        .value_kind:     global_buffer
      - .actual_access:  read_only
        .address_space:  global
        .offset:         16
        .size:           8
        .value_kind:     global_buffer
      - .actual_access:  read_only
        .address_space:  global
        .offset:         24
        .size:           8
        .value_kind:     global_buffer
      - .actual_access:  write_only
        .address_space:  global
        .offset:         32
        .size:           8
        .value_kind:     global_buffer
    .group_segment_fixed_size: 0
    .kernarg_segment_align: 8
    .kernarg_segment_size: 40
    .language:       OpenCL C
    .language_version:
      - 2
      - 0
    .max_flat_workgroup_size: 1024
    .name:           _Z19kernel_1024_one_256PKfS0_S0_S0_Pf
    .private_segment_fixed_size: 0
    .sgpr_count:     13
    .sgpr_spill_count: 0
    .symbol:         _Z19kernel_1024_one_256PKfS0_S0_S0_Pf.kd
    .uniform_work_group_size: 1
    .uses_dynamic_stack: false
    .vgpr_count:     14
    .vgpr_spill_count: 0
    .wavefront_size: 32
  - .args:
      - .actual_access:  read_only
        .address_space:  global
        .offset:         0
        .size:           8
        .value_kind:     global_buffer
      - .actual_access:  read_only
        .address_space:  global
        .offset:         8
        .size:           8
        .value_kind:     global_buffer
      - .actual_access:  read_only
        .address_space:  global
        .offset:         16
        .size:           8
        .value_kind:     global_buffer
      - .actual_access:  read_only
        .address_space:  global
        .offset:         24
        .size:           8
        .value_kind:     global_buffer
      - .actual_access:  write_only
        .address_space:  global
        .offset:         32
        .size:           8
        .value_kind:     global_buffer
    .group_segment_fixed_size: 0
    .kernarg_segment_align: 8
    .kernarg_segment_size: 40
    .language:       OpenCL C
    .language_version:
      - 2
      - 0
    .max_flat_workgroup_size: 1024
    .name:           _Z19kernel_256_one_1024PKfS0_S0_S0_Pf
    .private_segment_fixed_size: 0
    .sgpr_count:     14
    .sgpr_spill_count: 0
    .symbol:         _Z19kernel_256_one_1024PKfS0_S0_S0_Pf.kd
    .uniform_work_group_size: 1
    .uses_dynamic_stack: false
    .vgpr_count:     21
    .vgpr_spill_count: 0
    .wavefront_size: 32
amdhsa.target:   amdgcn-amd-amdhsa--gfx1250
amdhsa.version:
  - 1
  - 2
...

	.end_amdgpu_metadata
